;; amdgpu-corpus repo=ROCm/rocFFT kind=compiled arch=gfx950 opt=O3
	.text
	.amdgcn_target "amdgcn-amd-amdhsa--gfx950"
	.amdhsa_code_object_version 6
	.protected	fft_rtc_fwd_len330_factors_11_10_3_wgs_99_tpt_33_sp_ip_CI_sbrr_dirReg ; -- Begin function fft_rtc_fwd_len330_factors_11_10_3_wgs_99_tpt_33_sp_ip_CI_sbrr_dirReg
	.globl	fft_rtc_fwd_len330_factors_11_10_3_wgs_99_tpt_33_sp_ip_CI_sbrr_dirReg
	.p2align	8
	.type	fft_rtc_fwd_len330_factors_11_10_3_wgs_99_tpt_33_sp_ip_CI_sbrr_dirReg,@function
fft_rtc_fwd_len330_factors_11_10_3_wgs_99_tpt_33_sp_ip_CI_sbrr_dirReg: ; @fft_rtc_fwd_len330_factors_11_10_3_wgs_99_tpt_33_sp_ip_CI_sbrr_dirReg
; %bb.0:
	s_load_dwordx2 s[12:13], s[0:1], 0x18
	s_load_dwordx4 s[4:7], s[0:1], 0x0
	s_load_dwordx2 s[10:11], s[0:1], 0x50
	v_mul_u32_u24_e32 v1, 0x7c2, v0
	v_lshrrev_b32_e32 v2, 16, v1
	s_waitcnt lgkmcnt(0)
	s_load_dwordx2 s[8:9], s[12:13], 0x0
	v_mad_u64_u32 v[2:3], s[2:3], s2, 3, v[2:3]
	v_mov_b32_e32 v6, 0
	v_mov_b32_e32 v3, v6
	v_cmp_lt_u64_e64 s[2:3], s[6:7], 2
	s_and_b64 vcc, exec, s[2:3]
	v_mov_b64_e32 v[4:5], 0
	v_mov_b64_e32 v[10:11], v[2:3]
	s_cbranch_vccnz .LBB0_8
; %bb.1:
	s_load_dwordx2 s[2:3], s[0:1], 0x10
	s_add_u32 s14, s12, 8
	s_addc_u32 s15, s13, 0
	s_mov_b64 s[16:17], 1
	v_mov_b64_e32 v[4:5], 0
	s_waitcnt lgkmcnt(0)
	s_add_u32 s18, s2, 8
	s_addc_u32 s19, s3, 0
	v_mov_b64_e32 v[8:9], v[2:3]
.LBB0_2:                                ; =>This Inner Loop Header: Depth=1
	s_load_dwordx2 s[20:21], s[18:19], 0x0
                                        ; implicit-def: $vgpr10_vgpr11
	s_waitcnt lgkmcnt(0)
	v_or_b32_e32 v7, s21, v9
	v_cmp_ne_u64_e32 vcc, 0, v[6:7]
	s_and_saveexec_b64 s[2:3], vcc
	s_xor_b64 s[22:23], exec, s[2:3]
	s_cbranch_execz .LBB0_4
; %bb.3:                                ;   in Loop: Header=BB0_2 Depth=1
	v_cvt_f32_u32_e32 v1, s20
	v_cvt_f32_u32_e32 v3, s21
	s_sub_u32 s2, 0, s20
	s_subb_u32 s3, 0, s21
	v_fmac_f32_e32 v1, 0x4f800000, v3
	v_rcp_f32_e32 v1, v1
	s_nop 0
	v_mul_f32_e32 v1, 0x5f7ffffc, v1
	v_mul_f32_e32 v3, 0x2f800000, v1
	v_trunc_f32_e32 v3, v3
	v_fmac_f32_e32 v1, 0xcf800000, v3
	v_cvt_u32_f32_e32 v3, v3
	v_cvt_u32_f32_e32 v1, v1
	v_mul_lo_u32 v7, s2, v3
	v_mul_hi_u32 v10, s2, v1
	v_mul_lo_u32 v11, s3, v1
	v_add_u32_e32 v7, v10, v7
	v_mul_lo_u32 v14, s2, v1
	v_add_u32_e32 v7, v7, v11
	v_mul_hi_u32 v10, v1, v14
	v_mul_hi_u32 v13, v1, v7
	v_mul_lo_u32 v12, v1, v7
	v_mov_b32_e32 v11, v6
	v_lshl_add_u64 v[10:11], v[10:11], 0, v[12:13]
	v_mul_hi_u32 v13, v3, v14
	v_mul_lo_u32 v14, v3, v14
	v_add_co_u32_e32 v10, vcc, v10, v14
	v_mul_hi_u32 v12, v3, v7
	s_nop 0
	v_addc_co_u32_e32 v10, vcc, v11, v13, vcc
	v_mov_b32_e32 v11, v6
	s_nop 0
	v_addc_co_u32_e32 v13, vcc, 0, v12, vcc
	v_mul_lo_u32 v12, v3, v7
	v_lshl_add_u64 v[10:11], v[10:11], 0, v[12:13]
	v_add_co_u32_e32 v1, vcc, v1, v10
	v_mul_hi_u32 v10, s2, v1
	s_nop 0
	v_addc_co_u32_e32 v3, vcc, v3, v11, vcc
	v_mul_lo_u32 v7, s2, v3
	v_add_u32_e32 v7, v10, v7
	v_mul_lo_u32 v10, s3, v1
	v_add_u32_e32 v7, v7, v10
	v_mul_lo_u32 v12, s2, v1
	v_mul_hi_u32 v15, v3, v12
	v_mul_lo_u32 v16, v3, v12
	v_mul_hi_u32 v11, v1, v7
	;; [unrolled: 2-line block ×3, first 2 shown]
	v_mov_b32_e32 v13, v6
	v_lshl_add_u64 v[10:11], v[12:13], 0, v[10:11]
	v_add_co_u32_e32 v10, vcc, v10, v16
	v_mul_hi_u32 v14, v3, v7
	s_nop 0
	v_addc_co_u32_e32 v10, vcc, v11, v15, vcc
	v_mul_lo_u32 v12, v3, v7
	s_nop 0
	v_addc_co_u32_e32 v13, vcc, 0, v14, vcc
	v_mov_b32_e32 v11, v6
	v_lshl_add_u64 v[10:11], v[10:11], 0, v[12:13]
	v_add_co_u32_e32 v1, vcc, v1, v10
	v_mul_hi_u32 v12, v8, v1
	s_nop 0
	v_addc_co_u32_e32 v3, vcc, v3, v11, vcc
	v_mad_u64_u32 v[10:11], s[2:3], v8, v3, 0
	v_mov_b32_e32 v13, v6
	v_lshl_add_u64 v[10:11], v[12:13], 0, v[10:11]
	v_mad_u64_u32 v[14:15], s[2:3], v9, v1, 0
	v_add_co_u32_e32 v1, vcc, v10, v14
	v_mad_u64_u32 v[12:13], s[2:3], v9, v3, 0
	s_nop 0
	v_addc_co_u32_e32 v10, vcc, v11, v15, vcc
	v_mov_b32_e32 v11, v6
	s_nop 0
	v_addc_co_u32_e32 v13, vcc, 0, v13, vcc
	v_lshl_add_u64 v[10:11], v[10:11], 0, v[12:13]
	v_mul_lo_u32 v1, s21, v10
	v_mul_lo_u32 v3, s20, v11
	v_mad_u64_u32 v[12:13], s[2:3], s20, v10, 0
	v_add3_u32 v1, v13, v3, v1
	v_sub_u32_e32 v3, v9, v1
	v_mov_b32_e32 v7, s21
	v_sub_co_u32_e32 v16, vcc, v8, v12
	v_lshl_add_u64 v[14:15], v[10:11], 0, 1
	s_nop 0
	v_subb_co_u32_e64 v3, s[2:3], v3, v7, vcc
	v_subrev_co_u32_e64 v7, s[2:3], s20, v16
	v_subb_co_u32_e32 v1, vcc, v9, v1, vcc
	s_nop 0
	v_subbrev_co_u32_e64 v3, s[2:3], 0, v3, s[2:3]
	v_cmp_le_u32_e64 s[2:3], s21, v3
	v_cmp_le_u32_e32 vcc, s21, v1
	s_nop 0
	v_cndmask_b32_e64 v12, 0, -1, s[2:3]
	v_cmp_le_u32_e64 s[2:3], s20, v7
	s_nop 1
	v_cndmask_b32_e64 v7, 0, -1, s[2:3]
	v_cmp_eq_u32_e64 s[2:3], s21, v3
	s_nop 1
	v_cndmask_b32_e64 v3, v12, v7, s[2:3]
	v_lshl_add_u64 v[12:13], v[10:11], 0, 2
	v_cmp_ne_u32_e64 s[2:3], 0, v3
	v_cndmask_b32_e64 v7, 0, -1, vcc
	v_cmp_le_u32_e32 vcc, s20, v16
	v_cndmask_b32_e64 v3, v15, v13, s[2:3]
	s_nop 0
	v_cndmask_b32_e64 v13, 0, -1, vcc
	v_cmp_eq_u32_e32 vcc, s21, v1
	s_nop 1
	v_cndmask_b32_e32 v1, v7, v13, vcc
	v_cmp_ne_u32_e32 vcc, 0, v1
	v_cndmask_b32_e64 v1, v14, v12, s[2:3]
	s_nop 0
	v_cndmask_b32_e32 v11, v11, v3, vcc
	v_cndmask_b32_e32 v10, v10, v1, vcc
.LBB0_4:                                ;   in Loop: Header=BB0_2 Depth=1
	s_andn2_saveexec_b64 s[2:3], s[22:23]
	s_cbranch_execz .LBB0_6
; %bb.5:                                ;   in Loop: Header=BB0_2 Depth=1
	v_cvt_f32_u32_e32 v1, s20
	s_sub_i32 s22, 0, s20
	v_mov_b32_e32 v11, v6
	v_rcp_iflag_f32_e32 v1, v1
	s_nop 0
	v_mul_f32_e32 v1, 0x4f7ffffe, v1
	v_cvt_u32_f32_e32 v1, v1
	v_mul_lo_u32 v3, s22, v1
	v_mul_hi_u32 v3, v1, v3
	v_add_u32_e32 v1, v1, v3
	v_mul_hi_u32 v1, v8, v1
	v_mul_lo_u32 v3, v1, s20
	v_sub_u32_e32 v3, v8, v3
	v_add_u32_e32 v7, 1, v1
	v_subrev_u32_e32 v10, s20, v3
	v_cmp_le_u32_e32 vcc, s20, v3
	s_nop 1
	v_cndmask_b32_e32 v3, v3, v10, vcc
	v_cndmask_b32_e32 v1, v1, v7, vcc
	v_add_u32_e32 v7, 1, v1
	v_cmp_le_u32_e32 vcc, s20, v3
	s_nop 1
	v_cndmask_b32_e32 v10, v1, v7, vcc
.LBB0_6:                                ;   in Loop: Header=BB0_2 Depth=1
	s_or_b64 exec, exec, s[2:3]
	v_mad_u64_u32 v[12:13], s[2:3], v10, s20, 0
	s_load_dwordx2 s[2:3], s[14:15], 0x0
	s_add_u32 s16, s16, 1
	v_mul_lo_u32 v1, v11, s20
	v_mul_lo_u32 v3, v10, s21
	s_addc_u32 s17, s17, 0
	v_add3_u32 v1, v13, v3, v1
	v_sub_co_u32_e32 v3, vcc, v8, v12
	s_add_u32 s14, s14, 8
	s_nop 0
	v_subb_co_u32_e32 v1, vcc, v9, v1, vcc
	s_addc_u32 s15, s15, 0
	v_mov_b64_e32 v[8:9], s[6:7]
	s_waitcnt lgkmcnt(0)
	v_mul_lo_u32 v1, s2, v1
	v_mul_lo_u32 v7, s3, v3
	v_mad_u64_u32 v[4:5], s[2:3], s2, v3, v[4:5]
	s_add_u32 s18, s18, 8
	v_cmp_ge_u64_e32 vcc, s[16:17], v[8:9]
	v_add3_u32 v5, v7, v5, v1
	s_addc_u32 s19, s19, 0
	s_cbranch_vccnz .LBB0_8
; %bb.7:                                ;   in Loop: Header=BB0_2 Depth=1
	v_mov_b64_e32 v[8:9], v[10:11]
	s_branch .LBB0_2
.LBB0_8:
	s_lshl_b64 s[2:3], s[6:7], 3
	s_add_u32 s2, s12, s2
	s_addc_u32 s3, s13, s3
	s_load_dwordx2 s[6:7], s[2:3], 0x0
	s_load_dwordx2 s[12:13], s[0:1], 0x20
	s_waitcnt lgkmcnt(0)
	v_mad_u64_u32 v[4:5], s[0:1], s6, v10, v[4:5]
	v_mul_lo_u32 v1, s6, v11
	v_mul_lo_u32 v3, s7, v10
	s_mov_b32 s0, 0xaaaaaaab
	v_add3_u32 v5, v3, v5, v1
	v_mul_hi_u32 v1, v2, s0
	v_lshrrev_b32_e32 v1, 1, v1
	v_lshl_add_u32 v1, v1, 1, v1
	v_sub_u32_e32 v1, v2, v1
	s_mov_b32 s0, 0x7c1f07d
	v_mul_u32_u24_e32 v70, 0x14a, v1
	v_mul_hi_u32 v1, v0, s0
	v_mul_u32_u24_e32 v1, 33, v1
	v_sub_u32_e32 v66, v0, v1
	v_cmp_gt_u64_e32 vcc, s[12:13], v[10:11]
	v_lshl_add_u64 v[24:25], v[4:5], 3, s[10:11]
	v_lshlrev_b32_e32 v72, 3, v70
	v_lshlrev_b32_e32 v0, 3, v66
	v_add_u32_e32 v67, 33, v66
	s_and_saveexec_b64 s[0:1], vcc
	s_cbranch_execz .LBB0_10
; %bb.9:
	v_mad_u64_u32 v[2:3], s[2:3], s8, v66, 0
	v_mov_b32_e32 v4, v3
	v_mad_u64_u32 v[4:5], s[2:3], s9, v66, v[4:5]
	v_mov_b32_e32 v3, v4
	v_mad_u64_u32 v[4:5], s[2:3], s8, v67, 0
	v_mov_b32_e32 v6, v5
	v_mad_u64_u32 v[6:7], s[2:3], s9, v67, v[6:7]
	v_add_u32_e32 v1, 0x42, v66
	v_mov_b32_e32 v5, v6
	v_mad_u64_u32 v[6:7], s[2:3], s8, v1, 0
	v_mov_b32_e32 v8, v7
	v_mad_u64_u32 v[8:9], s[2:3], s9, v1, v[8:9]
	v_add_u32_e32 v1, 0x63, v66
	v_mov_b32_e32 v7, v8
	v_mad_u64_u32 v[8:9], s[2:3], s8, v1, 0
	v_mov_b32_e32 v10, v9
	v_mad_u64_u32 v[10:11], s[2:3], s9, v1, v[10:11]
	v_lshl_add_u64 v[2:3], v[2:3], 3, v[24:25]
	v_mov_b32_e32 v9, v10
	v_add_u32_e32 v1, 0x84, v66
	v_lshl_add_u64 v[4:5], v[4:5], 3, v[24:25]
	v_lshl_add_u64 v[6:7], v[6:7], 3, v[24:25]
	;; [unrolled: 1-line block ×3, first 2 shown]
	global_load_dwordx2 v[10:11], v[2:3], off
	global_load_dwordx2 v[12:13], v[4:5], off
	;; [unrolled: 1-line block ×4, first 2 shown]
	v_mad_u64_u32 v[2:3], s[2:3], s8, v1, 0
	v_mov_b32_e32 v4, v3
	v_mad_u64_u32 v[4:5], s[2:3], s9, v1, v[4:5]
	v_add_u32_e32 v1, 0xa5, v66
	v_mov_b32_e32 v3, v4
	v_mad_u64_u32 v[4:5], s[2:3], s8, v1, 0
	v_mov_b32_e32 v6, v5
	v_mad_u64_u32 v[6:7], s[2:3], s9, v1, v[6:7]
	v_add_u32_e32 v1, 0xc6, v66
	v_mov_b32_e32 v5, v6
	v_mad_u64_u32 v[6:7], s[2:3], s8, v1, 0
	v_mov_b32_e32 v8, v7
	v_mad_u64_u32 v[8:9], s[2:3], s9, v1, v[8:9]
	v_add_u32_e32 v1, 0xe7, v66
	v_mov_b32_e32 v7, v8
	v_mad_u64_u32 v[8:9], s[2:3], s8, v1, 0
	v_mov_b32_e32 v18, v9
	v_mad_u64_u32 v[18:19], s[2:3], s9, v1, v[18:19]
	v_lshl_add_u64 v[2:3], v[2:3], 3, v[24:25]
	v_mov_b32_e32 v9, v18
	v_add_u32_e32 v1, 0x108, v66
	v_lshl_add_u64 v[4:5], v[4:5], 3, v[24:25]
	v_lshl_add_u64 v[6:7], v[6:7], 3, v[24:25]
	v_lshl_add_u64 v[8:9], v[8:9], 3, v[24:25]
	global_load_dwordx2 v[18:19], v[2:3], off
	global_load_dwordx2 v[20:21], v[4:5], off
	;; [unrolled: 1-line block ×4, first 2 shown]
	v_mad_u64_u32 v[2:3], s[2:3], s8, v1, 0
	v_mov_b32_e32 v4, v3
	v_mad_u64_u32 v[4:5], s[2:3], s9, v1, v[4:5]
	v_add_u32_e32 v1, 0x129, v66
	v_mov_b32_e32 v3, v4
	v_mad_u64_u32 v[4:5], s[2:3], s8, v1, 0
	v_mov_b32_e32 v6, v5
	v_mad_u64_u32 v[6:7], s[2:3], s9, v1, v[6:7]
	v_lshl_add_u64 v[2:3], v[2:3], 3, v[24:25]
	v_mov_b32_e32 v5, v6
	v_lshl_add_u64 v[4:5], v[4:5], 3, v[24:25]
	global_load_dwordx2 v[6:7], v[2:3], off
	global_load_dwordx2 v[8:9], v[4:5], off
	v_add3_u32 v1, 0, v72, v0
	s_waitcnt vmcnt(8)
	ds_write2_b64 v1, v[10:11], v[12:13] offset1:33
	s_waitcnt vmcnt(6)
	ds_write2_b64 v1, v[14:15], v[16:17] offset0:66 offset1:99
	s_waitcnt vmcnt(4)
	ds_write2_b64 v1, v[18:19], v[20:21] offset0:132 offset1:165
	s_waitcnt vmcnt(2)
	ds_write2_b64 v1, v[22:23], v[26:27] offset0:198 offset1:231
	v_add_u32_e32 v1, 0x800, v1
	s_waitcnt vmcnt(0)
	ds_write2_b64 v1, v[6:7], v[8:9] offset0:8 offset1:41
.LBB0_10:
	s_or_b64 exec, exec, s[0:1]
	v_add_u32_e32 v71, 0, v0
	v_add_u32_e32 v69, v71, v72
	;; [unrolled: 1-line block ×3, first 2 shown]
	s_waitcnt lgkmcnt(0)
	s_barrier
	ds_read2_b64 v[8:11], v69 offset0:30 offset1:60
	ds_read2_b64 v[4:7], v1 offset0:14 offset1:44
	v_add3_u32 v68, 0, v72, v0
	ds_read_b64 v[0:1], v68
	ds_read2_b64 v[16:19], v69 offset0:90 offset1:120
	ds_read2_b64 v[12:15], v69 offset0:210 offset1:240
	s_mov_b32 s20, 0xbf0a6770
	s_mov_b32 s10, 0x3f575c64
	s_waitcnt lgkmcnt(3)
	v_pk_add_f32 v[28:29], v[8:9], v[6:7] neg_lo:[0,1] neg_hi:[0,1]
	v_pk_add_f32 v[26:27], v[6:7], v[8:9]
	v_pk_mul_f32 v[2:3], v[28:29], s[20:21] op_sel_hi:[1,0]
	v_pk_add_f32 v[32:33], v[10:11], v[4:5] neg_lo:[0,1] neg_hi:[0,1]
	s_mov_b32 s26, 0xbf68dda4
	v_pk_fma_f32 v[46:47], v[26:27], s[10:11], v[2:3] op_sel:[0,0,1] op_sel_hi:[1,0,0]
	v_pk_fma_f32 v[48:49], v[26:27], s[10:11], v[2:3] op_sel:[0,0,1] op_sel_hi:[1,0,0] neg_lo:[0,0,1] neg_hi:[0,0,1]
	v_pk_add_f32 v[30:31], v[4:5], v[10:11]
	s_mov_b32 s6, 0x3ed4b147
	v_pk_mul_f32 v[20:21], v[32:33], s[26:27] op_sel_hi:[1,0]
	v_mov_b32_e32 v2, v46
	v_mov_b32_e32 v3, v49
	v_pk_fma_f32 v[50:51], v[30:31], s[6:7], v[20:21] op_sel:[0,0,1] op_sel_hi:[1,0,0]
	v_pk_fma_f32 v[52:53], v[30:31], s[6:7], v[20:21] op_sel:[0,0,1] op_sel_hi:[1,0,0] neg_lo:[0,0,1] neg_hi:[0,0,1]
	s_waitcnt lgkmcnt(2)
	v_pk_add_f32 v[2:3], v[0:1], v[2:3]
	v_mov_b32_e32 v20, v50
	v_mov_b32_e32 v21, v53
	s_waitcnt lgkmcnt(0)
	v_pk_add_f32 v[36:37], v[16:17], v[14:15] neg_lo:[0,1] neg_hi:[0,1]
	s_mov_b32 s14, 0xbf7d64f0
	v_pk_add_f32 v[2:3], v[20:21], v[2:3]
	v_pk_add_f32 v[34:35], v[14:15], v[16:17]
	s_mov_b32 s12, 0xbe11bafb
	v_pk_mul_f32 v[20:21], v[36:37], s[14:15] op_sel_hi:[1,0]
	v_pk_add_f32 v[40:41], v[18:19], v[12:13] neg_lo:[0,1] neg_hi:[0,1]
	v_pk_fma_f32 v[54:55], v[34:35], s[12:13], v[20:21] op_sel:[0,0,1] op_sel_hi:[1,0,0]
	v_pk_fma_f32 v[56:57], v[34:35], s[12:13], v[20:21] op_sel:[0,0,1] op_sel_hi:[1,0,0] neg_lo:[0,0,1] neg_hi:[0,0,1]
	v_mov_b32_e32 v20, v54
	v_mov_b32_e32 v21, v57
	s_mov_b32 s18, 0xbf4178ce
	v_pk_add_f32 v[2:3], v[20:21], v[2:3]
	v_pk_add_f32 v[38:39], v[12:13], v[18:19]
	s_mov_b32 s16, 0xbf27a4f4
	v_pk_mul_f32 v[20:21], v[40:41], s[18:19] op_sel_hi:[1,0]
	s_mov_b32 s24, 0xbe903f40
	v_pk_fma_f32 v[58:59], v[38:39], s[16:17], v[20:21] op_sel:[0,0,1] op_sel_hi:[1,0,0]
	v_pk_fma_f32 v[60:61], v[38:39], s[16:17], v[20:21] op_sel:[0,0,1] op_sel_hi:[1,0,0] neg_lo:[0,0,1] neg_hi:[0,0,1]
	ds_read2_b64 v[20:23], v69 offset0:150 offset1:180
	v_mov_b32_e32 v42, v58
	v_mov_b32_e32 v43, v61
	v_pk_add_f32 v[2:3], v[42:43], v[2:3]
	s_mov_b32 s22, 0xbf75a155
	s_waitcnt lgkmcnt(0)
	v_pk_add_f32 v[44:45], v[20:21], v[22:23] neg_lo:[0,1] neg_hi:[0,1]
	v_pk_add_f32 v[42:43], v[22:23], v[20:21]
	v_pk_mul_f32 v[64:65], v[44:45], s[24:25] op_sel_hi:[1,0]
	v_cmp_gt_u32_e64 s[0:1], 30, v66
	v_pk_fma_f32 v[62:63], v[42:43], s[22:23], v[64:65] op_sel:[0,0,1] op_sel_hi:[1,0,0]
	v_pk_fma_f32 v[64:65], v[42:43], s[22:23], v[64:65] op_sel:[0,0,1] op_sel_hi:[1,0,0] neg_lo:[0,0,1] neg_hi:[0,0,1]
	v_mov_b32_e32 v74, v62
	v_mov_b32_e32 v75, v65
	v_pk_add_f32 v[2:3], v[74:75], v[2:3]
	s_barrier
	s_and_saveexec_b64 s[2:3], s[0:1]
	s_cbranch_execz .LBB0_12
; %bb.11:
	v_pk_add_f32 v[8:9], v[0:1], v[8:9]
	v_mov_b32_e32 v49, v47
	v_pk_add_f32 v[8:9], v[8:9], v[10:11]
	v_mov_b32_e32 v53, v51
	;; [unrolled: 2-line block ×4, first 2 shown]
	v_pk_add_f32 v[8:9], v[8:9], v[20:21]
	v_mul_u32_u24_e32 v10, 0x50, v66
	v_pk_add_f32 v[8:9], v[8:9], v[22:23]
	v_mov_b32_e32 v65, v63
	v_pk_add_f32 v[8:9], v[8:9], v[12:13]
	v_add3_u32 v73, v71, v10, v72
	v_pk_add_f32 v[8:9], v[8:9], v[14:15]
	v_pk_mul_f32 v[10:11], v[32:33], s[18:19] op_sel_hi:[1,0]
	v_pk_add_f32 v[4:5], v[8:9], v[4:5]
	v_pk_fma_f32 v[12:13], v[30:31], s[16:17], v[10:11] op_sel:[0,0,1] op_sel_hi:[1,0,0] neg_lo:[0,0,1] neg_hi:[0,0,1]
	v_pk_add_f32 v[4:5], v[4:5], v[6:7]
	v_pk_add_f32 v[6:7], v[0:1], v[48:49]
	v_pk_fma_f32 v[10:11], v[30:31], s[16:17], v[10:11] op_sel:[0,0,1] op_sel_hi:[1,0,0]
	v_pk_add_f32 v[6:7], v[52:53], v[6:7]
	v_mov_b32_e32 v14, v12
	v_pk_add_f32 v[6:7], v[56:57], v[6:7]
	v_mov_b32_e32 v15, v11
	v_pk_add_f32 v[6:7], v[60:61], v[6:7]
	s_mov_b32 s0, 0x3e903f40
	v_pk_add_f32 v[6:7], v[64:65], v[6:7]
	ds_write2_b64 v73, v[4:5], v[6:7] offset1:1
	v_pk_mul_f32 v[4:5], v[28:29], s[26:27] op_sel_hi:[1,0]
	s_mov_b32 s26, 0x3f7d64f0
	v_pk_fma_f32 v[6:7], v[26:27], s[6:7], v[4:5] op_sel:[0,0,1] op_sel_hi:[1,0,0] neg_lo:[0,0,1] neg_hi:[0,0,1]
	v_pk_fma_f32 v[4:5], v[26:27], s[6:7], v[4:5] op_sel:[0,0,1] op_sel_hi:[1,0,0]
	v_mov_b32_e32 v8, v6
	v_mov_b32_e32 v9, v5
	v_pk_add_f32 v[8:9], v[0:1], v[8:9]
	s_mov_b32 s28, 0x3f0a6770
	v_pk_add_f32 v[8:9], v[14:15], v[8:9]
	v_pk_mul_f32 v[14:15], v[36:37], s[0:1] op_sel_hi:[1,0]
	v_pk_mul_f32 v[54:55], v[32:33], s[0:1] op_sel_hi:[1,0]
	v_pk_fma_f32 v[16:17], v[34:35], s[22:23], v[14:15] op_sel:[0,0,1] op_sel_hi:[1,0,0] neg_lo:[0,0,1] neg_hi:[0,0,1]
	v_pk_fma_f32 v[14:15], v[34:35], s[22:23], v[14:15] op_sel:[0,0,1] op_sel_hi:[1,0,0]
	v_mov_b32_e32 v18, v16
	v_mov_b32_e32 v19, v15
	v_pk_add_f32 v[8:9], v[18:19], v[8:9]
	v_pk_mul_f32 v[18:19], v[40:41], s[26:27] op_sel_hi:[1,0]
	v_pk_fma_f32 v[56:57], v[30:31], s[22:23], v[54:55] op_sel:[0,0,1] op_sel_hi:[1,0,0] neg_lo:[0,0,1] neg_hi:[0,0,1]
	v_pk_fma_f32 v[20:21], v[38:39], s[12:13], v[18:19] op_sel:[0,0,1] op_sel_hi:[1,0,0] neg_lo:[0,0,1] neg_hi:[0,0,1]
	v_pk_fma_f32 v[18:19], v[38:39], s[12:13], v[18:19] op_sel:[0,0,1] op_sel_hi:[1,0,0]
	v_mov_b32_e32 v22, v20
	v_mov_b32_e32 v23, v19
	v_pk_add_f32 v[8:9], v[22:23], v[8:9]
	v_pk_mul_f32 v[22:23], v[44:45], s[28:29] op_sel_hi:[1,0]
	v_pk_fma_f32 v[54:55], v[30:31], s[22:23], v[54:55] op_sel:[0,0,1] op_sel_hi:[1,0,0]
	v_pk_fma_f32 v[46:47], v[42:43], s[10:11], v[22:23] op_sel:[0,0,1] op_sel_hi:[1,0,0] neg_lo:[0,0,1] neg_hi:[0,0,1]
	v_pk_fma_f32 v[22:23], v[42:43], s[10:11], v[22:23] op_sel:[0,0,1] op_sel_hi:[1,0,0]
	v_mov_b32_e32 v48, v46
	v_mov_b32_e32 v49, v23
	v_pk_add_f32 v[8:9], v[48:49], v[8:9]
	v_pk_mul_f32 v[48:49], v[28:29], s[14:15] op_sel_hi:[1,0]
	v_mov_b32_e32 v58, v56
	v_pk_fma_f32 v[50:51], v[26:27], s[12:13], v[48:49] op_sel:[0,0,1] op_sel_hi:[1,0,0] neg_lo:[0,0,1] neg_hi:[0,0,1]
	v_pk_fma_f32 v[48:49], v[26:27], s[12:13], v[48:49] op_sel:[0,0,1] op_sel_hi:[1,0,0]
	v_mov_b32_e32 v52, v50
	v_mov_b32_e32 v53, v49
	v_pk_add_f32 v[52:53], v[0:1], v[52:53]
	v_mov_b32_e32 v59, v55
	s_mov_b32 s0, 0x3f68dda4
	v_pk_add_f32 v[52:53], v[58:59], v[52:53]
	v_pk_mul_f32 v[58:59], v[36:37], s[0:1] op_sel_hi:[1,0]
	v_pk_mul_f32 v[80:81], v[32:33], s[26:27] op_sel_hi:[1,0]
	v_pk_fma_f32 v[60:61], v[34:35], s[6:7], v[58:59] op_sel:[0,0,1] op_sel_hi:[1,0,0] neg_lo:[0,0,1] neg_hi:[0,0,1]
	v_pk_fma_f32 v[58:59], v[34:35], s[6:7], v[58:59] op_sel:[0,0,1] op_sel_hi:[1,0,0]
	v_mov_b32_e32 v62, v60
	v_mov_b32_e32 v63, v59
	v_pk_add_f32 v[52:53], v[62:63], v[52:53]
	v_pk_mul_f32 v[62:63], v[40:41], s[20:21] op_sel_hi:[1,0]
	v_pk_fma_f32 v[82:83], v[30:31], s[12:13], v[80:81] op_sel:[0,0,1] op_sel_hi:[1,0,0] neg_lo:[0,0,1] neg_hi:[0,0,1]
	v_pk_fma_f32 v[64:65], v[38:39], s[10:11], v[62:63] op_sel:[0,0,1] op_sel_hi:[1,0,0] neg_lo:[0,0,1] neg_hi:[0,0,1]
	v_pk_fma_f32 v[62:63], v[38:39], s[10:11], v[62:63] op_sel:[0,0,1] op_sel_hi:[1,0,0]
	v_mov_b32_e32 v74, v64
	v_mov_b32_e32 v75, v63
	v_pk_add_f32 v[52:53], v[74:75], v[52:53]
	v_pk_mul_f32 v[74:75], v[44:45], s[18:19] op_sel_hi:[1,0]
	v_pk_fma_f32 v[80:81], v[30:31], s[12:13], v[80:81] op_sel:[0,0,1] op_sel_hi:[1,0,0]
	v_pk_fma_f32 v[76:77], v[42:43], s[16:17], v[74:75] op_sel:[0,0,1] op_sel_hi:[1,0,0] neg_lo:[0,0,1] neg_hi:[0,0,1]
	v_pk_fma_f32 v[74:75], v[42:43], s[16:17], v[74:75] op_sel:[0,0,1] op_sel_hi:[1,0,0]
	v_mov_b32_e32 v78, v76
	v_mov_b32_e32 v79, v75
	v_pk_add_f32 v[52:53], v[78:79], v[52:53]
	ds_write2_b64 v73, v[8:9], v[52:53] offset0:2 offset1:3
	v_pk_mul_f32 v[8:9], v[28:29], s[18:19] op_sel_hi:[1,0]
	v_mov_b32_e32 v84, v82
	v_pk_fma_f32 v[52:53], v[26:27], s[16:17], v[8:9] op_sel:[0,0,1] op_sel_hi:[1,0,0] neg_lo:[0,0,1] neg_hi:[0,0,1]
	v_pk_fma_f32 v[8:9], v[26:27], s[16:17], v[8:9] op_sel:[0,0,1] op_sel_hi:[1,0,0]
	v_mov_b32_e32 v78, v52
	v_mov_b32_e32 v79, v9
	v_pk_add_f32 v[78:79], v[0:1], v[78:79]
	v_mov_b32_e32 v85, v81
	v_pk_add_f32 v[78:79], v[84:85], v[78:79]
	v_pk_mul_f32 v[84:85], v[36:37], s[20:21] op_sel_hi:[1,0]
	v_pk_mul_f32 v[28:29], v[28:29], s[24:25] op_sel_hi:[1,0]
	v_pk_fma_f32 v[86:87], v[34:35], s[10:11], v[84:85] op_sel:[0,0,1] op_sel_hi:[1,0,0] neg_lo:[0,0,1] neg_hi:[0,0,1]
	v_pk_fma_f32 v[84:85], v[34:35], s[10:11], v[84:85] op_sel:[0,0,1] op_sel_hi:[1,0,0]
	v_mov_b32_e32 v88, v86
	v_mov_b32_e32 v89, v85
	v_pk_add_f32 v[78:79], v[88:89], v[78:79]
	v_pk_mul_f32 v[88:89], v[40:41], s[24:25] op_sel_hi:[1,0]
	v_pk_mul_f32 v[36:37], v[36:37], s[18:19] op_sel_hi:[1,0]
	v_pk_fma_f32 v[90:91], v[38:39], s[22:23], v[88:89] op_sel:[0,0,1] op_sel_hi:[1,0,0] neg_lo:[0,0,1] neg_hi:[0,0,1]
	v_pk_fma_f32 v[88:89], v[38:39], s[22:23], v[88:89] op_sel:[0,0,1] op_sel_hi:[1,0,0]
	v_mov_b32_e32 v92, v90
	v_mov_b32_e32 v93, v89
	v_pk_add_f32 v[78:79], v[92:93], v[78:79]
	v_pk_mul_f32 v[92:93], v[44:45], s[0:1] op_sel_hi:[1,0]
	v_mov_b32_e32 v9, v53
	v_pk_fma_f32 v[94:95], v[42:43], s[6:7], v[92:93] op_sel:[0,0,1] op_sel_hi:[1,0,0] neg_lo:[0,0,1] neg_hi:[0,0,1]
	v_pk_fma_f32 v[92:93], v[42:43], s[6:7], v[92:93] op_sel:[0,0,1] op_sel_hi:[1,0,0]
	v_mov_b32_e32 v96, v94
	v_mov_b32_e32 v97, v93
	v_pk_add_f32 v[78:79], v[96:97], v[78:79]
	v_pk_fma_f32 v[96:97], v[26:27], s[22:23], v[28:29] op_sel:[0,0,1] op_sel_hi:[1,0,0] neg_lo:[0,0,1] neg_hi:[0,0,1]
	v_pk_fma_f32 v[26:27], v[26:27], s[22:23], v[28:29] op_sel:[0,0,1] op_sel_hi:[1,0,0]
	v_pk_mul_f32 v[28:29], v[32:33], s[28:29] op_sel_hi:[1,0]
	v_mov_b32_e32 v81, v83
	v_pk_fma_f32 v[32:33], v[30:31], s[10:11], v[28:29] op_sel:[0,0,1] op_sel_hi:[1,0,0] neg_lo:[0,0,1] neg_hi:[0,0,1]
	v_pk_fma_f32 v[28:29], v[30:31], s[10:11], v[28:29] op_sel:[0,0,1] op_sel_hi:[1,0,0]
	v_mov_b32_e32 v30, v96
	v_mov_b32_e32 v31, v27
	v_pk_add_f32 v[30:31], v[0:1], v[30:31]
	v_mov_b32_e32 v98, v32
	v_mov_b32_e32 v99, v29
	v_pk_add_f32 v[30:31], v[98:99], v[30:31]
	v_pk_fma_f32 v[98:99], v[34:35], s[16:17], v[36:37] op_sel:[0,0,1] op_sel_hi:[1,0,0] neg_lo:[0,0,1] neg_hi:[0,0,1]
	v_pk_fma_f32 v[34:35], v[34:35], s[16:17], v[36:37] op_sel:[0,0,1] op_sel_hi:[1,0,0]
	v_mov_b32_e32 v36, v98
	v_mov_b32_e32 v37, v35
	v_pk_add_f32 v[30:31], v[36:37], v[30:31]
	v_pk_mul_f32 v[36:37], v[40:41], s[0:1] op_sel_hi:[1,0]
	v_mov_b32_e32 v27, v97
	v_pk_fma_f32 v[40:41], v[38:39], s[6:7], v[36:37] op_sel:[0,0,1] op_sel_hi:[1,0,0] neg_lo:[0,0,1] neg_hi:[0,0,1]
	v_pk_fma_f32 v[36:37], v[38:39], s[6:7], v[36:37] op_sel:[0,0,1] op_sel_hi:[1,0,0]
	v_mov_b32_e32 v38, v40
	v_mov_b32_e32 v39, v37
	;; [unrolled: 1-line block ×3, first 2 shown]
	v_pk_add_f32 v[26:27], v[0:1], v[26:27]
	v_pk_add_f32 v[8:9], v[0:1], v[8:9]
	v_pk_add_f32 v[30:31], v[38:39], v[30:31]
	v_pk_mul_f32 v[38:39], v[44:45], s[14:15] op_sel_hi:[1,0]
	v_pk_add_f32 v[26:27], v[28:29], v[26:27]
	v_mov_b32_e32 v35, v99
	v_pk_add_f32 v[8:9], v[80:81], v[8:9]
	v_mov_b32_e32 v85, v87
	v_pk_fma_f32 v[44:45], v[42:43], s[12:13], v[38:39] op_sel:[0,0,1] op_sel_hi:[1,0,0] neg_lo:[0,0,1] neg_hi:[0,0,1]
	v_pk_fma_f32 v[38:39], v[42:43], s[12:13], v[38:39] op_sel:[0,0,1] op_sel_hi:[1,0,0]
	v_pk_add_f32 v[26:27], v[34:35], v[26:27]
	v_mov_b32_e32 v37, v41
	v_pk_add_f32 v[8:9], v[84:85], v[8:9]
	v_mov_b32_e32 v89, v91
	v_mov_b32_e32 v43, v39
	v_pk_add_f32 v[26:27], v[36:37], v[26:27]
	v_mov_b32_e32 v39, v45
	v_pk_add_f32 v[8:9], v[88:89], v[8:9]
	;; [unrolled: 2-line block ×3, first 2 shown]
	v_pk_add_f32 v[8:9], v[92:93], v[8:9]
	v_mov_b32_e32 v49, v51
	v_mov_b32_e32 v5, v7
	ds_write2_b64 v73, v[26:27], v[8:9] offset0:6 offset1:7
	v_pk_add_f32 v[8:9], v[0:1], v[48:49]
	v_mov_b32_e32 v55, v57
	v_pk_add_f32 v[0:1], v[0:1], v[4:5]
	v_mov_b32_e32 v11, v13
	;; [unrolled: 2-line block ×6, first 2 shown]
	v_mov_b32_e32 v42, v44
	v_pk_add_f32 v[8:9], v[62:63], v[8:9]
	v_mov_b32_e32 v75, v77
	v_pk_add_f32 v[0:1], v[18:19], v[0:1]
	v_mov_b32_e32 v23, v47
	v_pk_add_f32 v[30:31], v[42:43], v[30:31]
	v_pk_add_f32 v[8:9], v[74:75], v[8:9]
	v_pk_add_f32 v[0:1], v[22:23], v[0:1]
	ds_write2_b64 v73, v[78:79], v[30:31] offset0:4 offset1:5
	ds_write2_b64 v73, v[8:9], v[0:1] offset0:8 offset1:9
	ds_write_b64 v73, v[2:3] offset:80
.LBB0_12:
	s_or_b64 exec, exec, s[2:3]
	s_movk_i32 s0, 0x75
	v_mul_lo_u16_sdwa v0, v66, s0 dst_sel:DWORD dst_unused:UNUSED_PAD src0_sel:BYTE_0 src1_sel:DWORD
	v_sub_u16_sdwa v1, v66, v0 dst_sel:DWORD dst_unused:UNUSED_PAD src0_sel:DWORD src1_sel:BYTE_1
	v_lshrrev_b16_e32 v1, 1, v1
	v_and_b32_e32 v1, 0x7f, v1
	v_add_u16_sdwa v0, v1, v0 dst_sel:DWORD dst_unused:UNUSED_PAD src0_sel:DWORD src1_sel:BYTE_1
	v_lshrrev_b16_e32 v42, 3, v0
	v_mul_lo_u16_e32 v0, 11, v42
	v_sub_u16_e32 v43, v66, v0
	v_mov_b32_e32 v0, 9
	v_mul_u32_u24_sdwa v0, v43, v0 dst_sel:DWORD dst_unused:UNUSED_PAD src0_sel:BYTE_0 src1_sel:DWORD
	v_lshlrev_b32_e32 v20, 3, v0
	s_waitcnt lgkmcnt(0)
	s_barrier
	global_load_dwordx4 v[4:7], v20, s[4:5]
	global_load_dwordx4 v[8:11], v20, s[4:5] offset:16
	global_load_dwordx4 v[12:15], v20, s[4:5] offset:32
	;; [unrolled: 1-line block ×3, first 2 shown]
	global_load_dwordx2 v[0:1], v20, s[4:5] offset:64
	ds_read2_b64 v[20:23], v69 offset0:33 offset1:66
	ds_read2_b64 v[26:29], v69 offset0:99 offset1:132
	;; [unrolled: 1-line block ×3, first 2 shown]
	v_add_u32_e32 v60, 0x400, v69
	ds_read_b64 v[38:39], v68
	ds_read_b64 v[40:41], v69 offset:2376
	ds_read2_b64 v[34:37], v60 offset0:103 offset1:136
	s_movk_i32 s1, 0x370
	v_mov_b32_e32 v44, 3
	v_mad_u32_u24 v42, v42, s1, 0
	v_lshlrev_b32_sdwa v43, v44, v43 dst_sel:DWORD dst_unused:UNUSED_PAD src0_sel:DWORD src1_sel:BYTE_0
	v_add3_u32 v61, v42, v43, v72
	s_mov_b32 s0, 0x3f737871
	s_mov_b32 s6, 0x3f167918
	;; [unrolled: 1-line block ×5, first 2 shown]
	s_waitcnt lgkmcnt(0)
	s_barrier
	s_waitcnt vmcnt(4)
	v_pk_mul_f32 v[42:43], v[6:7], v[22:23] op_sel:[0,1]
	s_waitcnt vmcnt(3)
	v_pk_mul_f32 v[44:45], v[10:11], v[28:29] op_sel:[0,1]
	s_waitcnt vmcnt(2)
	v_mov_b32_e32 v46, v15
	s_waitcnt vmcnt(1)
	v_mov_b32_e32 v48, v19
	v_pk_mul_f32 v[50:51], v[4:5], v[20:21] op_sel:[0,1]
	v_pk_mul_f32 v[52:53], v[8:9], v[26:27] op_sel:[0,1]
	v_pk_fma_f32 v[58:59], v[6:7], v[22:23], v[42:43] op_sel:[0,0,1] op_sel_hi:[1,1,0] neg_lo:[0,0,1] neg_hi:[0,0,1]
	v_pk_fma_f32 v[6:7], v[6:7], v[22:23], v[42:43] op_sel:[0,0,1] op_sel_hi:[1,0,0]
	v_pk_fma_f32 v[42:43], v[10:11], v[28:29], v[44:45] op_sel:[0,0,1] op_sel_hi:[1,1,0] neg_lo:[0,0,1] neg_hi:[0,0,1]
	v_pk_fma_f32 v[10:11], v[10:11], v[28:29], v[44:45] op_sel:[0,0,1] op_sel_hi:[1,0,0]
	v_pk_mul_f32 v[28:29], v[32:33], v[46:47] op_sel_hi:[1,0]
	v_pk_mul_f32 v[54:55], v[12:13], v[30:31] op_sel:[0,1]
	v_pk_fma_f32 v[22:23], v[4:5], v[20:21], v[50:51] op_sel:[0,0,1] op_sel_hi:[1,1,0] neg_lo:[0,0,1] neg_hi:[0,0,1]
	v_pk_fma_f32 v[4:5], v[4:5], v[20:21], v[50:51] op_sel:[0,0,1] op_sel_hi:[1,0,0]
	v_pk_mul_f32 v[44:45], v[36:37], v[48:49] op_sel_hi:[1,0]
	v_pk_fma_f32 v[46:47], v[8:9], v[26:27], v[52:53] op_sel:[0,0,1] op_sel_hi:[1,1,0] neg_lo:[0,0,1] neg_hi:[0,0,1]
	v_pk_fma_f32 v[8:9], v[8:9], v[26:27], v[52:53] op_sel:[0,0,1] op_sel_hi:[1,0,0]
	v_mov_b32_e32 v59, v7
	v_mov_b32_e32 v43, v11
	v_pk_fma_f32 v[6:7], v[32:33], v[14:15], v[28:29] op_sel:[0,0,1] op_sel_hi:[1,1,0] neg_lo:[0,0,1] neg_hi:[0,0,1]
	v_pk_fma_f32 v[10:11], v[32:33], v[14:15], v[28:29] op_sel:[0,0,1] op_sel_hi:[1,0,0]
	v_pk_mul_f32 v[56:57], v[34:35], v[16:17] op_sel:[0,1]
	s_waitcnt vmcnt(0)
	v_pk_mul_f32 v[20:21], v[40:41], v[0:1] op_sel:[0,1]
	v_pk_fma_f32 v[26:27], v[12:13], v[30:31], v[54:55] op_sel:[0,0,1] op_sel_hi:[1,1,0] neg_lo:[0,0,1] neg_hi:[0,0,1]
	v_pk_fma_f32 v[12:13], v[12:13], v[30:31], v[54:55] op_sel:[0,0,1] op_sel_hi:[1,0,0]
	v_pk_fma_f32 v[14:15], v[36:37], v[18:19], v[44:45] op_sel:[0,0,1] op_sel_hi:[1,1,0] neg_lo:[0,0,1] neg_hi:[0,0,1]
	v_pk_fma_f32 v[18:19], v[36:37], v[18:19], v[44:45] op_sel:[0,0,1] op_sel_hi:[1,0,0]
	v_mov_b32_e32 v23, v5
	v_mov_b32_e32 v47, v9
	;; [unrolled: 1-line block ×3, first 2 shown]
	v_pk_fma_f32 v[30:31], v[34:35], v[16:17], v[56:57] op_sel:[0,0,1] op_sel_hi:[1,1,0] neg_lo:[0,0,1] neg_hi:[0,0,1]
	v_pk_fma_f32 v[16:17], v[34:35], v[16:17], v[56:57] op_sel:[0,0,1] op_sel_hi:[1,0,0]
	v_pk_fma_f32 v[34:35], v[40:41], v[0:1], v[20:21] op_sel:[0,0,1] op_sel_hi:[1,1,0] neg_lo:[0,0,1] neg_hi:[0,0,1]
	v_pk_fma_f32 v[0:1], v[40:41], v[0:1], v[20:21] op_sel:[0,0,1] op_sel_hi:[1,0,0]
	v_mov_b32_e32 v27, v13
	v_mov_b32_e32 v15, v19
	v_pk_add_f32 v[4:5], v[22:23], v[46:47]
	v_pk_add_f32 v[10:11], v[38:39], v[58:59]
	;; [unrolled: 1-line block ×3, first 2 shown]
	v_mov_b32_e32 v31, v17
	v_mov_b32_e32 v35, v1
	v_pk_add_f32 v[0:1], v[58:59], v[42:43] neg_lo:[0,1] neg_hi:[0,1]
	v_pk_add_f32 v[28:29], v[58:59], v[14:15] neg_lo:[0,1] neg_hi:[0,1]
	;; [unrolled: 1-line block ×3, first 2 shown]
	v_pk_add_f32 v[4:5], v[4:5], v[26:27]
	v_pk_add_f32 v[10:11], v[10:11], v[42:43]
	v_pk_fma_f32 v[20:21], v[20:21], 0.5, v[38:39] op_sel_hi:[1,0,1] neg_lo:[1,0,0] neg_hi:[1,0,0]
	v_pk_add_f32 v[32:33], v[42:43], v[6:7] neg_lo:[0,1] neg_hi:[0,1]
	v_pk_add_f32 v[36:37], v[0:1], v[36:37]
	v_pk_add_f32 v[0:1], v[4:5], v[30:31]
	;; [unrolled: 1-line block ×3, first 2 shown]
	v_pk_fma_f32 v[10:11], v[28:29], s[0:1], v[20:21] op_sel:[1,0,0] op_sel_hi:[0,0,1] neg_lo:[1,0,0] neg_hi:[1,0,0]
	v_pk_fma_f32 v[20:21], v[28:29], s[0:1], v[20:21] op_sel:[1,0,0] op_sel_hi:[0,0,1]
	v_pk_fma_f32 v[20:21], v[32:33], s[6:7], v[20:21] op_sel:[1,0,0] op_sel_hi:[0,0,1]
	v_pk_fma_f32 v[10:11], v[32:33], s[6:7], v[10:11] op_sel:[1,0,0] op_sel_hi:[0,0,1] neg_lo:[1,0,0] neg_hi:[1,0,0]
	v_pk_add_f32 v[40:41], v[0:1], v[34:35]
	v_mov_b32_e32 v0, v10
	v_mov_b32_e32 v1, v21
	v_pk_add_f32 v[8:9], v[26:27], v[30:31]
	v_pk_add_f32 v[18:19], v[46:47], v[26:27] neg_lo:[0,1] neg_hi:[0,1]
	v_pk_fma_f32 v[44:45], v[36:37], s[2:3], v[0:1] op_sel_hi:[1,0,1]
	v_pk_add_f32 v[0:1], v[34:35], v[30:31] neg_lo:[0,1] neg_hi:[0,1]
	v_pk_add_f32 v[12:13], v[46:47], v[34:35] neg_lo:[0,1] neg_hi:[0,1]
	v_pk_fma_f32 v[8:9], v[8:9], 0.5, v[22:23] op_sel_hi:[1,0,1] neg_lo:[1,0,0] neg_hi:[1,0,0]
	v_pk_add_f32 v[0:1], v[18:19], v[0:1]
	v_pk_add_f32 v[16:17], v[26:27], v[30:31] neg_lo:[0,1] neg_hi:[0,1]
	v_pk_mul_f32 v[18:19], v[0:1], s[2:3] op_sel_hi:[1,0]
	v_pk_fma_f32 v[0:1], v[12:13], s[0:1], v[8:9] op_sel:[0,0,1] op_sel_hi:[1,0,0]
	v_pk_fma_f32 v[8:9], v[12:13], s[0:1], v[8:9] op_sel:[0,0,1] op_sel_hi:[1,0,0] neg_lo:[1,0,0] neg_hi:[1,0,0]
	v_pk_fma_f32 v[48:49], v[16:17], s[6:7], v[0:1] op_sel_hi:[1,0,1]
	v_pk_fma_f32 v[8:9], v[16:17], s[6:7], v[8:9] op_sel_hi:[1,0,1] neg_lo:[1,0,0] neg_hi:[1,0,0]
	v_mov_b32_e32 v0, v48
	v_mov_b32_e32 v1, v9
	;; [unrolled: 1-line block ×3, first 2 shown]
	v_pk_add_f32 v[8:9], v[18:19], v[8:9] op_sel:[1,0] op_sel_hi:[0,1]
	v_pk_add_f32 v[0:1], v[18:19], v[0:1] op_sel:[1,0] op_sel_hi:[0,1]
	v_mov_b32_e32 v21, v11
	v_pk_mul_f32 v[18:19], v[8:9], s[6:7] op_sel_hi:[1,0]
	v_pk_fma_f32 v[10:11], v[36:37], s[2:3], v[20:21] op_sel_hi:[1,0,1]
	v_pk_fma_f32 v[20:21], v[8:9], s[10:11], v[18:19] op_sel:[0,0,1] op_sel_hi:[1,0,0]
	v_pk_fma_f32 v[8:9], v[8:9], s[10:11], v[18:19] op_sel:[0,0,1] op_sel_hi:[1,0,0] neg_lo:[0,0,1] neg_hi:[0,0,1]
	v_pk_add_f32 v[4:5], v[4:5], v[14:15]
	v_mov_b32_e32 v18, v21
	v_mov_b32_e32 v19, v8
	v_pk_add_f32 v[52:53], v[4:5], v[40:41]
	v_pk_add_f32 v[8:9], v[10:11], v[18:19]
	ds_write2_b64 v61, v[52:53], v[8:9] offset1:11
	v_pk_add_f32 v[8:9], v[58:59], v[14:15]
	v_pk_add_f32 v[6:7], v[6:7], v[14:15] neg_lo:[0,1] neg_hi:[0,1]
	v_pk_fma_f32 v[8:9], v[8:9], 0.5, v[38:39] op_sel_hi:[1,0,1] neg_lo:[1,0,0] neg_hi:[1,0,0]
	v_pk_add_f32 v[26:27], v[26:27], v[46:47] neg_lo:[0,1] neg_hi:[0,1]
	v_pk_fma_f32 v[14:15], v[32:33], s[0:1], v[8:9] op_sel:[1,0,0] op_sel_hi:[0,0,1] neg_lo:[1,0,0] neg_hi:[1,0,0]
	v_pk_fma_f32 v[8:9], v[32:33], s[0:1], v[8:9] op_sel:[1,0,0] op_sel_hi:[0,0,1]
	v_pk_fma_f32 v[8:9], v[28:29], s[6:7], v[8:9] op_sel:[1,0,0] op_sel_hi:[0,0,1] neg_lo:[1,0,0] neg_hi:[1,0,0]
	v_pk_fma_f32 v[14:15], v[28:29], s[6:7], v[14:15] op_sel:[1,0,0] op_sel_hi:[0,0,1]
	v_pk_add_f32 v[28:29], v[46:47], v[34:35]
	v_pk_mul_f32 v[16:17], v[16:17], s[0:1] op_sel_hi:[1,0]
	v_pk_fma_f32 v[22:23], v[28:29], 0.5, v[22:23] op_sel_hi:[1,0,1] neg_lo:[1,0,0] neg_hi:[1,0,0]
	v_pk_add_f32 v[28:29], v[30:31], v[34:35] neg_lo:[0,1] neg_hi:[0,1]
	v_pk_mul_f32 v[12:13], v[12:13], s[6:7] op_sel_hi:[1,0]
	v_pk_add_f32 v[26:27], v[26:27], v[28:29]
	v_pk_add_f32 v[28:29], v[22:23], v[16:17] op_sel:[0,1] op_sel_hi:[1,0] neg_lo:[0,1] neg_hi:[0,1]
	v_pk_add_f32 v[16:17], v[22:23], v[16:17] op_sel:[0,1] op_sel_hi:[1,0]
	v_pk_add_f32 v[20:21], v[42:43], v[58:59] neg_lo:[0,1] neg_hi:[0,1]
	v_pk_add_f32 v[16:17], v[16:17], v[12:13] op_sel:[0,1] op_sel_hi:[1,0] neg_lo:[0,1] neg_hi:[0,1]
	v_pk_add_f32 v[12:13], v[28:29], v[12:13] op_sel:[0,1] op_sel_hi:[1,0]
	v_mov_b32_e32 v23, v17
	v_mov_b32_e32 v22, v12
	v_pk_add_f32 v[6:7], v[20:21], v[6:7]
	v_mov_b32_e32 v20, v14
	v_mov_b32_e32 v21, v9
	v_pk_fma_f32 v[22:23], v[26:27], s[2:3], v[22:23] op_sel_hi:[1,0,1]
	v_mov_b32_e32 v9, v15
	v_mov_b32_e32 v17, v13
	v_pk_mul_f32 v[50:51], v[0:1], s[10:11] op_sel_hi:[1,0]
	v_pk_fma_f32 v[20:21], v[6:7], s[2:3], v[20:21] op_sel_hi:[1,0,1]
	v_pk_mul_f32 v[28:29], v[22:23], s[0:1] op_sel_hi:[1,0]
	v_pk_fma_f32 v[6:7], v[6:7], s[2:3], v[8:9] op_sel_hi:[1,0,1]
	v_pk_fma_f32 v[8:9], v[26:27], s[2:3], v[16:17] op_sel_hi:[1,0,1]
	v_pk_fma_f32 v[50:51], v[0:1], s[6:7], v[50:51] op_sel:[0,0,1] op_sel_hi:[1,1,0] neg_lo:[0,0,1] neg_hi:[0,0,1]
	v_pk_fma_f32 v[30:31], v[22:23], s[2:3], v[28:29] op_sel:[0,0,1] op_sel_hi:[1,0,0]
	v_pk_fma_f32 v[22:23], v[22:23], s[2:3], v[28:29] op_sel:[0,0,1] op_sel_hi:[1,0,0] neg_lo:[0,0,1] neg_hi:[0,0,1]
	s_mov_b32 s6, 0xbf737871
	s_mov_b32 s7, s0
	v_pk_mul_f32 v[12:13], v[8:9], s[2:3] op_sel_hi:[1,0]
	v_mov_b32_e32 v31, v23
	v_pk_fma_f32 v[8:9], v[8:9], s[6:7], v[12:13] op_sel:[0,0,1] op_sel_hi:[1,1,0] neg_lo:[0,0,1] neg_hi:[0,0,1]
	v_pk_add_f32 v[22:23], v[20:21], v[30:31]
	v_pk_add_f32 v[12:13], v[6:7], v[8:9] op_sel:[0,1] op_sel_hi:[1,0]
	ds_write2_b64 v61, v[22:23], v[12:13] offset0:22 offset1:33
	v_pk_add_f32 v[12:13], v[44:45], v[50:51]
	v_pk_add_f32 v[4:5], v[4:5], v[40:41] neg_lo:[0,1] neg_hi:[0,1]
	ds_write2_b64 v61, v[12:13], v[4:5] offset0:44 offset1:55
	v_pk_add_f32 v[4:5], v[10:11], v[18:19] neg_lo:[0,1] neg_hi:[0,1]
	v_pk_add_f32 v[10:11], v[20:21], v[30:31] neg_lo:[0,1] neg_hi:[0,1]
	;; [unrolled: 1-line block ×3, first 2 shown]
	ds_write2_b64 v61, v[4:5], v[10:11] offset0:66 offset1:77
	v_pk_add_f32 v[4:5], v[6:7], v[8:9] op_sel:[0,1] op_sel_hi:[1,0] neg_lo:[0,1] neg_hi:[0,1]
	ds_write2_b64 v61, v[4:5], v[0:1] offset0:88 offset1:99
	s_waitcnt lgkmcnt(0)
	s_barrier
	ds_read_b64 v[22:23], v68
	ds_read2_b64 v[16:19], v69 offset0:110 offset1:143
	ds_read2_b64 v[8:11], v69 offset0:176 offset1:220
	;; [unrolled: 1-line block ×4, first 2 shown]
	v_cmp_gt_u32_e64 s[0:1], 11, v66
                                        ; implicit-def: $vgpr20
	s_and_saveexec_b64 s[2:3], s[0:1]
	s_cbranch_execz .LBB0_14
; %bb.13:
	ds_read2_b64 v[0:3], v69 offset0:99 offset1:209
	ds_read_b64 v[20:21], v69 offset:2552
.LBB0_14:
	s_or_b64 exec, exec, s[2:3]
	v_lshlrev_b32_e32 v26, 1, v66
	v_mov_b32_e32 v27, 0
	v_lshl_add_u64 v[28:29], v[26:27], 3, s[4:5]
	v_lshlrev_b32_e32 v26, 1, v67
	global_load_dwordx4 v[30:33], v[28:29], off offset:792
	v_lshl_add_u64 v[28:29], v[26:27], 3, s[4:5]
	global_load_dwordx4 v[34:37], v[28:29], off offset:792
	v_add_u32_e32 v28, 0x42, v66
	v_lshlrev_b32_e32 v26, 1, v28
	v_lshl_add_u64 v[38:39], v[26:27], 3, s[4:5]
	global_load_dwordx4 v[38:41], v[38:39], off offset:792
	s_mov_b32 s2, 0x3f5db3d7
	s_waitcnt lgkmcnt(0)
	s_barrier
	v_lshl_add_u32 v26, v70, 3, v71
	v_add_u32_e32 v29, 0x63, v66
	v_add_u32_e32 v48, 0x400, v26
	s_waitcnt vmcnt(2)
	v_pk_mul_f32 v[42:43], v[30:31], v[16:17] op_sel:[0,1]
	v_pk_mul_f32 v[44:45], v[32:33], v[10:11] op_sel:[0,1]
	v_pk_fma_f32 v[46:47], v[30:31], v[16:17], v[42:43] op_sel:[0,0,1] op_sel_hi:[1,1,0] neg_lo:[0,0,1] neg_hi:[0,0,1]
	v_pk_fma_f32 v[16:17], v[30:31], v[16:17], v[42:43] op_sel:[0,0,1] op_sel_hi:[1,0,0]
	v_pk_fma_f32 v[30:31], v[32:33], v[10:11], v[44:45] op_sel:[0,0,1] op_sel_hi:[1,1,0] neg_lo:[0,0,1] neg_hi:[0,0,1]
	v_pk_fma_f32 v[10:11], v[32:33], v[10:11], v[44:45] op_sel:[0,0,1] op_sel_hi:[1,0,0]
	s_waitcnt vmcnt(1)
	v_pk_mul_f32 v[32:33], v[34:35], v[18:19] op_sel:[0,1]
	v_pk_mul_f32 v[42:43], v[36:37], v[12:13] op_sel:[0,1]
	v_mov_b32_e32 v47, v17
	v_mov_b32_e32 v31, v11
	v_pk_fma_f32 v[10:11], v[34:35], v[18:19], v[32:33] op_sel:[0,0,1] op_sel_hi:[1,1,0] neg_lo:[0,0,1] neg_hi:[0,0,1]
	v_pk_fma_f32 v[16:17], v[34:35], v[18:19], v[32:33] op_sel:[0,0,1] op_sel_hi:[1,0,0]
	v_pk_fma_f32 v[18:19], v[36:37], v[12:13], v[42:43] op_sel:[0,0,1] op_sel_hi:[1,1,0] neg_lo:[0,0,1] neg_hi:[0,0,1]
	v_pk_fma_f32 v[12:13], v[36:37], v[12:13], v[42:43] op_sel:[0,0,1] op_sel_hi:[1,0,0]
	s_waitcnt vmcnt(0)
	v_pk_mul_f32 v[32:33], v[38:39], v[8:9] op_sel:[0,1]
	v_pk_mul_f32 v[34:35], v[40:41], v[14:15] op_sel:[0,1]
	v_pk_add_f32 v[36:37], v[22:23], v[46:47]
	v_mov_b32_e32 v11, v17
	v_mov_b32_e32 v19, v13
	v_pk_fma_f32 v[12:13], v[38:39], v[8:9], v[32:33] op_sel:[0,0,1] op_sel_hi:[1,1,0] neg_lo:[0,0,1] neg_hi:[0,0,1]
	v_pk_fma_f32 v[8:9], v[38:39], v[8:9], v[32:33] op_sel:[0,0,1] op_sel_hi:[1,0,0]
	v_pk_fma_f32 v[16:17], v[40:41], v[14:15], v[34:35] op_sel:[0,0,1] op_sel_hi:[1,1,0] neg_lo:[0,0,1] neg_hi:[0,0,1]
	v_pk_fma_f32 v[14:15], v[40:41], v[14:15], v[34:35] op_sel:[0,0,1] op_sel_hi:[1,0,0]
	v_pk_add_f32 v[32:33], v[46:47], v[30:31]
	v_pk_add_f32 v[34:35], v[46:47], v[30:31] neg_lo:[0,1] neg_hi:[0,1]
	v_pk_add_f32 v[30:31], v[36:37], v[30:31]
	v_pk_add_f32 v[36:37], v[4:5], v[10:11]
	v_mov_b32_e32 v13, v9
	v_mov_b32_e32 v17, v15
	v_pk_fma_f32 v[8:9], v[32:33], 0.5, v[22:23] op_sel_hi:[1,0,1] neg_lo:[1,0,0] neg_hi:[1,0,0]
	v_pk_mul_f32 v[14:15], v[34:35], s[2:3] op_sel_hi:[1,0]
	v_pk_add_f32 v[22:23], v[10:11], v[18:19]
	v_pk_add_f32 v[10:11], v[10:11], v[18:19] neg_lo:[0,1] neg_hi:[0,1]
	v_pk_add_f32 v[18:19], v[36:37], v[18:19]
	v_pk_add_f32 v[32:33], v[6:7], v[12:13]
	v_pk_add_f32 v[34:35], v[8:9], v[14:15] op_sel:[0,1] op_sel_hi:[1,0]
	v_pk_add_f32 v[8:9], v[8:9], v[14:15] op_sel:[0,1] op_sel_hi:[1,0] neg_lo:[0,1] neg_hi:[0,1]
	v_pk_fma_f32 v[4:5], v[22:23], 0.5, v[4:5] op_sel_hi:[1,0,1] neg_lo:[1,0,0] neg_hi:[1,0,0]
	v_pk_mul_f32 v[10:11], v[10:11], s[2:3] op_sel_hi:[1,0]
	v_pk_add_f32 v[14:15], v[12:13], v[16:17]
	v_pk_add_f32 v[12:13], v[12:13], v[16:17] neg_lo:[0,1] neg_hi:[0,1]
	ds_write2_b64 v69, v[30:31], v[18:19] offset1:33
	v_pk_add_f32 v[18:19], v[4:5], v[10:11] op_sel:[0,1] op_sel_hi:[1,0]
	v_pk_add_f32 v[4:5], v[4:5], v[10:11] op_sel:[0,1] op_sel_hi:[1,0] neg_lo:[0,1] neg_hi:[0,1]
	v_pk_fma_f32 v[6:7], v[14:15], 0.5, v[6:7] op_sel_hi:[1,0,1] neg_lo:[1,0,0] neg_hi:[1,0,0]
	v_pk_mul_f32 v[10:11], v[12:13], s[2:3] op_sel_hi:[1,0]
	v_mov_b32_e32 v23, v9
	v_mov_b32_e32 v9, v35
	v_pk_add_f32 v[12:13], v[6:7], v[10:11] op_sel:[0,1] op_sel_hi:[1,0]
	v_pk_add_f32 v[6:7], v[6:7], v[10:11] op_sel:[0,1] op_sel_hi:[1,0] neg_lo:[0,1] neg_hi:[0,1]
	v_pk_add_f32 v[16:17], v[32:33], v[16:17]
	v_mov_b32_e32 v22, v34
	ds_write_b64 v69, v[8:9] offset:1760
	v_mov_b32_e32 v8, v18
	v_mov_b32_e32 v9, v5
	;; [unrolled: 1-line block ×5, first 2 shown]
	ds_write2_b64 v69, v[16:17], v[22:23] offset0:66 offset1:110
	v_mov_b32_e32 v7, v13
	ds_write2_b64 v26, v[8:9], v[10:11] offset0:143 offset1:176
	ds_write2_b64 v48, v[4:5], v[6:7] offset0:125 offset1:158
	s_and_saveexec_b64 s[6:7], s[0:1]
	s_cbranch_execz .LBB0_16
; %bb.15:
	v_add_u32_e32 v4, -11, v66
	v_cndmask_b32_e64 v4, v4, v29, s[0:1]
	v_lshlrev_b32_e32 v26, 1, v4
	v_lshl_add_u64 v[4:5], v[26:27], 3, s[4:5]
	global_load_dwordx4 v[4:7], v[4:5], off offset:792
	v_mov_b32_e32 v8, v3
	v_mov_b32_e32 v10, v21
	s_waitcnt vmcnt(0)
	v_pk_mul_f32 v[8:9], v[8:9], v[4:5] op_sel_hi:[0,1]
	v_pk_mul_f32 v[10:11], v[10:11], v[6:7] op_sel_hi:[0,1]
	v_pk_fma_f32 v[12:13], v[2:3], v[4:5], v[8:9] op_sel:[0,0,1] op_sel_hi:[1,1,0] neg_lo:[0,0,1] neg_hi:[0,0,1]
	v_pk_fma_f32 v[2:3], v[2:3], v[4:5], v[8:9] op_sel:[0,0,1] op_sel_hi:[0,1,0]
	v_pk_fma_f32 v[4:5], v[20:21], v[6:7], v[10:11] op_sel:[0,0,1] op_sel_hi:[1,1,0] neg_lo:[0,0,1] neg_hi:[0,0,1]
	v_pk_fma_f32 v[6:7], v[20:21], v[6:7], v[10:11] op_sel:[0,0,1] op_sel_hi:[0,1,0]
	v_mov_b32_e32 v13, v3
	v_mov_b32_e32 v5, v7
	v_pk_add_f32 v[2:3], v[0:1], v[12:13]
	v_pk_add_f32 v[6:7], v[12:13], v[4:5]
	v_pk_add_f32 v[8:9], v[12:13], v[4:5] neg_lo:[0,1] neg_hi:[0,1]
	v_pk_add_f32 v[2:3], v[2:3], v[4:5]
	v_pk_fma_f32 v[0:1], -0.5, v[6:7], v[0:1] op_sel_hi:[0,1,1]
	v_pk_mul_f32 v[4:5], v[8:9], s[2:3] op_sel_hi:[1,0]
	s_nop 0
	v_pk_add_f32 v[6:7], v[0:1], v[4:5] op_sel:[0,1] op_sel_hi:[1,0]
	v_pk_add_f32 v[0:1], v[0:1], v[4:5] op_sel:[0,1] op_sel_hi:[1,0] neg_lo:[0,1] neg_hi:[0,1]
	v_mov_b32_e32 v4, v6
	v_mov_b32_e32 v5, v1
	;; [unrolled: 1-line block ×3, first 2 shown]
	ds_write2_b64 v69, v[2:3], v[4:5] offset0:99 offset1:209
	ds_write_b64 v69, v[0:1] offset:2552
.LBB0_16:
	s_or_b64 exec, exec, s[6:7]
	s_waitcnt lgkmcnt(0)
	s_barrier
	s_and_saveexec_b64 s[0:1], vcc
	s_cbranch_execz .LBB0_18
; %bb.17:
	v_mad_u64_u32 v[4:5], s[0:1], s8, v66, 0
	ds_read2_b64 v[0:3], v68 offset1:33
	v_mov_b32_e32 v6, v5
	v_mad_u64_u32 v[6:7], s[0:1], s9, v66, v[6:7]
	v_mov_b32_e32 v5, v6
	v_lshl_add_u64 v[4:5], v[4:5], 3, v[24:25]
	s_waitcnt lgkmcnt(0)
	global_store_dwordx2 v[4:5], v[0:1], off
	v_mad_u64_u32 v[0:1], s[0:1], s8, v67, 0
	v_mov_b32_e32 v4, v1
	v_mad_u64_u32 v[4:5], s[0:1], s9, v67, v[4:5]
	v_mov_b32_e32 v1, v4
	v_lshl_add_u64 v[0:1], v[0:1], 3, v[24:25]
	global_store_dwordx2 v[0:1], v[2:3], off
	v_mad_u64_u32 v[4:5], s[0:1], s8, v28, 0
	ds_read2_b64 v[0:3], v68 offset0:66 offset1:99
	v_mov_b32_e32 v6, v5
	v_mad_u64_u32 v[6:7], s[0:1], s9, v28, v[6:7]
	v_mov_b32_e32 v5, v6
	v_lshl_add_u64 v[4:5], v[4:5], 3, v[24:25]
	s_waitcnt lgkmcnt(0)
	global_store_dwordx2 v[4:5], v[0:1], off
	v_mad_u64_u32 v[0:1], s[0:1], s8, v29, 0
	v_mov_b32_e32 v4, v1
	v_mad_u64_u32 v[4:5], s[0:1], s9, v29, v[4:5]
	v_mov_b32_e32 v1, v4
	v_lshl_add_u64 v[0:1], v[0:1], 3, v[24:25]
	v_add_u32_e32 v7, 0x84, v66
	global_store_dwordx2 v[0:1], v[2:3], off
	v_mad_u64_u32 v[4:5], s[0:1], s8, v7, 0
	ds_read2_b64 v[0:3], v68 offset0:132 offset1:165
	v_mov_b32_e32 v6, v5
	v_mad_u64_u32 v[6:7], s[0:1], s9, v7, v[6:7]
	v_mov_b32_e32 v5, v6
	v_lshl_add_u64 v[4:5], v[4:5], 3, v[24:25]
	s_waitcnt lgkmcnt(0)
	global_store_dwordx2 v[4:5], v[0:1], off
	v_add_u32_e32 v5, 0xa5, v66
	v_mad_u64_u32 v[0:1], s[0:1], s8, v5, 0
	v_mov_b32_e32 v4, v1
	v_mad_u64_u32 v[4:5], s[0:1], s9, v5, v[4:5]
	v_mov_b32_e32 v1, v4
	v_lshl_add_u64 v[0:1], v[0:1], 3, v[24:25]
	v_add_u32_e32 v7, 0xc6, v66
	global_store_dwordx2 v[0:1], v[2:3], off
	v_mad_u64_u32 v[4:5], s[0:1], s8, v7, 0
	ds_read2_b64 v[0:3], v68 offset0:198 offset1:231
	v_mov_b32_e32 v6, v5
	v_mad_u64_u32 v[6:7], s[0:1], s9, v7, v[6:7]
	v_mov_b32_e32 v5, v6
	v_lshl_add_u64 v[4:5], v[4:5], 3, v[24:25]
	s_waitcnt lgkmcnt(0)
	global_store_dwordx2 v[4:5], v[0:1], off
	v_add_u32_e32 v5, 0xe7, v66
	v_mad_u64_u32 v[0:1], s[0:1], s8, v5, 0
	v_mov_b32_e32 v4, v1
	v_mad_u64_u32 v[4:5], s[0:1], s9, v5, v[4:5]
	v_mov_b32_e32 v1, v4
	v_lshl_add_u64 v[0:1], v[0:1], 3, v[24:25]
	global_store_dwordx2 v[0:1], v[2:3], off
	v_add_u32_e32 v7, 0x108, v66
	v_add_u32_e32 v0, 0x800, v68
	v_mad_u64_u32 v[4:5], s[0:1], s8, v7, 0
	ds_read2_b64 v[0:3], v0 offset0:8 offset1:41
	v_mov_b32_e32 v6, v5
	v_mad_u64_u32 v[6:7], s[0:1], s9, v7, v[6:7]
	v_mov_b32_e32 v5, v6
	v_lshl_add_u64 v[4:5], v[4:5], 3, v[24:25]
	s_waitcnt lgkmcnt(0)
	global_store_dwordx2 v[4:5], v[0:1], off
	v_add_u32_e32 v5, 0x129, v66
	v_mad_u64_u32 v[0:1], s[0:1], s8, v5, 0
	v_mov_b32_e32 v4, v1
	v_mad_u64_u32 v[4:5], s[0:1], s9, v5, v[4:5]
	v_mov_b32_e32 v1, v4
	v_lshl_add_u64 v[0:1], v[0:1], 3, v[24:25]
	global_store_dwordx2 v[0:1], v[2:3], off
.LBB0_18:
	s_endpgm
	.section	.rodata,"a",@progbits
	.p2align	6, 0x0
	.amdhsa_kernel fft_rtc_fwd_len330_factors_11_10_3_wgs_99_tpt_33_sp_ip_CI_sbrr_dirReg
		.amdhsa_group_segment_fixed_size 0
		.amdhsa_private_segment_fixed_size 0
		.amdhsa_kernarg_size 88
		.amdhsa_user_sgpr_count 2
		.amdhsa_user_sgpr_dispatch_ptr 0
		.amdhsa_user_sgpr_queue_ptr 0
		.amdhsa_user_sgpr_kernarg_segment_ptr 1
		.amdhsa_user_sgpr_dispatch_id 0
		.amdhsa_user_sgpr_kernarg_preload_length 0
		.amdhsa_user_sgpr_kernarg_preload_offset 0
		.amdhsa_user_sgpr_private_segment_size 0
		.amdhsa_uses_dynamic_stack 0
		.amdhsa_enable_private_segment 0
		.amdhsa_system_sgpr_workgroup_id_x 1
		.amdhsa_system_sgpr_workgroup_id_y 0
		.amdhsa_system_sgpr_workgroup_id_z 0
		.amdhsa_system_sgpr_workgroup_info 0
		.amdhsa_system_vgpr_workitem_id 0
		.amdhsa_next_free_vgpr 100
		.amdhsa_next_free_sgpr 30
		.amdhsa_accum_offset 100
		.amdhsa_reserve_vcc 1
		.amdhsa_float_round_mode_32 0
		.amdhsa_float_round_mode_16_64 0
		.amdhsa_float_denorm_mode_32 3
		.amdhsa_float_denorm_mode_16_64 3
		.amdhsa_dx10_clamp 1
		.amdhsa_ieee_mode 1
		.amdhsa_fp16_overflow 0
		.amdhsa_tg_split 0
		.amdhsa_exception_fp_ieee_invalid_op 0
		.amdhsa_exception_fp_denorm_src 0
		.amdhsa_exception_fp_ieee_div_zero 0
		.amdhsa_exception_fp_ieee_overflow 0
		.amdhsa_exception_fp_ieee_underflow 0
		.amdhsa_exception_fp_ieee_inexact 0
		.amdhsa_exception_int_div_zero 0
	.end_amdhsa_kernel
	.text
.Lfunc_end0:
	.size	fft_rtc_fwd_len330_factors_11_10_3_wgs_99_tpt_33_sp_ip_CI_sbrr_dirReg, .Lfunc_end0-fft_rtc_fwd_len330_factors_11_10_3_wgs_99_tpt_33_sp_ip_CI_sbrr_dirReg
                                        ; -- End function
	.section	.AMDGPU.csdata,"",@progbits
; Kernel info:
; codeLenInByte = 6224
; NumSgprs: 36
; NumVgprs: 100
; NumAgprs: 0
; TotalNumVgprs: 100
; ScratchSize: 0
; MemoryBound: 0
; FloatMode: 240
; IeeeMode: 1
; LDSByteSize: 0 bytes/workgroup (compile time only)
; SGPRBlocks: 4
; VGPRBlocks: 12
; NumSGPRsForWavesPerEU: 36
; NumVGPRsForWavesPerEU: 100
; AccumOffset: 100
; Occupancy: 4
; WaveLimiterHint : 1
; COMPUTE_PGM_RSRC2:SCRATCH_EN: 0
; COMPUTE_PGM_RSRC2:USER_SGPR: 2
; COMPUTE_PGM_RSRC2:TRAP_HANDLER: 0
; COMPUTE_PGM_RSRC2:TGID_X_EN: 1
; COMPUTE_PGM_RSRC2:TGID_Y_EN: 0
; COMPUTE_PGM_RSRC2:TGID_Z_EN: 0
; COMPUTE_PGM_RSRC2:TIDIG_COMP_CNT: 0
; COMPUTE_PGM_RSRC3_GFX90A:ACCUM_OFFSET: 24
; COMPUTE_PGM_RSRC3_GFX90A:TG_SPLIT: 0
	.text
	.p2alignl 6, 3212836864
	.fill 256, 4, 3212836864
	.type	__hip_cuid_da64df9e1c8401d2,@object ; @__hip_cuid_da64df9e1c8401d2
	.section	.bss,"aw",@nobits
	.globl	__hip_cuid_da64df9e1c8401d2
__hip_cuid_da64df9e1c8401d2:
	.byte	0                               ; 0x0
	.size	__hip_cuid_da64df9e1c8401d2, 1

	.ident	"AMD clang version 19.0.0git (https://github.com/RadeonOpenCompute/llvm-project roc-6.4.0 25133 c7fe45cf4b819c5991fe208aaa96edf142730f1d)"
	.section	".note.GNU-stack","",@progbits
	.addrsig
	.addrsig_sym __hip_cuid_da64df9e1c8401d2
	.amdgpu_metadata
---
amdhsa.kernels:
  - .agpr_count:     0
    .args:
      - .actual_access:  read_only
        .address_space:  global
        .offset:         0
        .size:           8
        .value_kind:     global_buffer
      - .offset:         8
        .size:           8
        .value_kind:     by_value
      - .actual_access:  read_only
        .address_space:  global
        .offset:         16
        .size:           8
        .value_kind:     global_buffer
      - .actual_access:  read_only
        .address_space:  global
        .offset:         24
        .size:           8
        .value_kind:     global_buffer
      - .offset:         32
        .size:           8
        .value_kind:     by_value
      - .actual_access:  read_only
        .address_space:  global
        .offset:         40
        .size:           8
        .value_kind:     global_buffer
      - .actual_access:  read_only
        .address_space:  global
        .offset:         48
        .size:           8
        .value_kind:     global_buffer
      - .offset:         56
        .size:           4
        .value_kind:     by_value
      - .actual_access:  read_only
        .address_space:  global
        .offset:         64
        .size:           8
        .value_kind:     global_buffer
      - .actual_access:  read_only
        .address_space:  global
        .offset:         72
        .size:           8
        .value_kind:     global_buffer
      - .address_space:  global
        .offset:         80
        .size:           8
        .value_kind:     global_buffer
    .group_segment_fixed_size: 0
    .kernarg_segment_align: 8
    .kernarg_segment_size: 88
    .language:       OpenCL C
    .language_version:
      - 2
      - 0
    .max_flat_workgroup_size: 99
    .name:           fft_rtc_fwd_len330_factors_11_10_3_wgs_99_tpt_33_sp_ip_CI_sbrr_dirReg
    .private_segment_fixed_size: 0
    .sgpr_count:     36
    .sgpr_spill_count: 0
    .symbol:         fft_rtc_fwd_len330_factors_11_10_3_wgs_99_tpt_33_sp_ip_CI_sbrr_dirReg.kd
    .uniform_work_group_size: 1
    .uses_dynamic_stack: false
    .vgpr_count:     100
    .vgpr_spill_count: 0
    .wavefront_size: 64
amdhsa.target:   amdgcn-amd-amdhsa--gfx950
amdhsa.version:
  - 1
  - 2
...

	.end_amdgpu_metadata
